;; amdgpu-corpus repo=ROCm/rocFFT kind=compiled arch=gfx1030 opt=O3
	.text
	.amdgcn_target "amdgcn-amd-amdhsa--gfx1030"
	.amdhsa_code_object_version 6
	.protected	fft_rtc_back_len1694_factors_11_2_11_7_wgs_154_tpt_154_halfLds_half_ip_CI_unitstride_sbrr_C2R_dirReg ; -- Begin function fft_rtc_back_len1694_factors_11_2_11_7_wgs_154_tpt_154_halfLds_half_ip_CI_unitstride_sbrr_C2R_dirReg
	.globl	fft_rtc_back_len1694_factors_11_2_11_7_wgs_154_tpt_154_halfLds_half_ip_CI_unitstride_sbrr_C2R_dirReg
	.p2align	8
	.type	fft_rtc_back_len1694_factors_11_2_11_7_wgs_154_tpt_154_halfLds_half_ip_CI_unitstride_sbrr_C2R_dirReg,@function
fft_rtc_back_len1694_factors_11_2_11_7_wgs_154_tpt_154_halfLds_half_ip_CI_unitstride_sbrr_C2R_dirReg: ; @fft_rtc_back_len1694_factors_11_2_11_7_wgs_154_tpt_154_halfLds_half_ip_CI_unitstride_sbrr_C2R_dirReg
; %bb.0:
	s_clause 0x2
	s_load_dwordx4 s[8:11], s[4:5], 0x0
	s_load_dwordx2 s[2:3], s[4:5], 0x50
	s_load_dwordx2 s[12:13], s[4:5], 0x18
	v_mul_u32_u24_e32 v1, 0x1aa, v0
	v_mov_b32_e32 v3, 0
	v_add_nc_u32_sdwa v5, s6, v1 dst_sel:DWORD dst_unused:UNUSED_PAD src0_sel:DWORD src1_sel:WORD_1
	v_mov_b32_e32 v1, 0
	v_mov_b32_e32 v6, v3
	v_mov_b32_e32 v2, 0
	s_waitcnt lgkmcnt(0)
	v_cmp_lt_u64_e64 s0, s[10:11], 2
	s_and_b32 vcc_lo, exec_lo, s0
	s_cbranch_vccnz .LBB0_8
; %bb.1:
	s_load_dwordx2 s[0:1], s[4:5], 0x10
	v_mov_b32_e32 v1, 0
	s_add_u32 s6, s12, 8
	v_mov_b32_e32 v2, 0
	s_addc_u32 s7, s13, 0
	s_mov_b64 s[16:17], 1
	s_waitcnt lgkmcnt(0)
	s_add_u32 s14, s0, 8
	s_addc_u32 s15, s1, 0
.LBB0_2:                                ; =>This Inner Loop Header: Depth=1
	s_load_dwordx2 s[18:19], s[14:15], 0x0
                                        ; implicit-def: $vgpr7_vgpr8
	s_mov_b32 s0, exec_lo
	s_waitcnt lgkmcnt(0)
	v_or_b32_e32 v4, s19, v6
	v_cmpx_ne_u64_e32 0, v[3:4]
	s_xor_b32 s1, exec_lo, s0
	s_cbranch_execz .LBB0_4
; %bb.3:                                ;   in Loop: Header=BB0_2 Depth=1
	v_cvt_f32_u32_e32 v4, s18
	v_cvt_f32_u32_e32 v7, s19
	s_sub_u32 s0, 0, s18
	s_subb_u32 s20, 0, s19
	v_fmac_f32_e32 v4, 0x4f800000, v7
	v_rcp_f32_e32 v4, v4
	v_mul_f32_e32 v4, 0x5f7ffffc, v4
	v_mul_f32_e32 v7, 0x2f800000, v4
	v_trunc_f32_e32 v7, v7
	v_fmac_f32_e32 v4, 0xcf800000, v7
	v_cvt_u32_f32_e32 v7, v7
	v_cvt_u32_f32_e32 v4, v4
	v_mul_lo_u32 v8, s0, v7
	v_mul_hi_u32 v9, s0, v4
	v_mul_lo_u32 v10, s20, v4
	v_add_nc_u32_e32 v8, v9, v8
	v_mul_lo_u32 v9, s0, v4
	v_add_nc_u32_e32 v8, v8, v10
	v_mul_hi_u32 v10, v4, v9
	v_mul_lo_u32 v11, v4, v8
	v_mul_hi_u32 v12, v4, v8
	v_mul_hi_u32 v13, v7, v9
	v_mul_lo_u32 v9, v7, v9
	v_mul_hi_u32 v14, v7, v8
	v_mul_lo_u32 v8, v7, v8
	v_add_co_u32 v10, vcc_lo, v10, v11
	v_add_co_ci_u32_e32 v11, vcc_lo, 0, v12, vcc_lo
	v_add_co_u32 v9, vcc_lo, v10, v9
	v_add_co_ci_u32_e32 v9, vcc_lo, v11, v13, vcc_lo
	v_add_co_ci_u32_e32 v10, vcc_lo, 0, v14, vcc_lo
	v_add_co_u32 v8, vcc_lo, v9, v8
	v_add_co_ci_u32_e32 v9, vcc_lo, 0, v10, vcc_lo
	v_add_co_u32 v4, vcc_lo, v4, v8
	v_add_co_ci_u32_e32 v7, vcc_lo, v7, v9, vcc_lo
	v_mul_hi_u32 v8, s0, v4
	v_mul_lo_u32 v10, s20, v4
	v_mul_lo_u32 v9, s0, v7
	v_add_nc_u32_e32 v8, v8, v9
	v_mul_lo_u32 v9, s0, v4
	v_add_nc_u32_e32 v8, v8, v10
	v_mul_hi_u32 v10, v4, v9
	v_mul_lo_u32 v11, v4, v8
	v_mul_hi_u32 v12, v4, v8
	v_mul_hi_u32 v13, v7, v9
	v_mul_lo_u32 v9, v7, v9
	v_mul_hi_u32 v14, v7, v8
	v_mul_lo_u32 v8, v7, v8
	v_add_co_u32 v10, vcc_lo, v10, v11
	v_add_co_ci_u32_e32 v11, vcc_lo, 0, v12, vcc_lo
	v_add_co_u32 v9, vcc_lo, v10, v9
	v_add_co_ci_u32_e32 v9, vcc_lo, v11, v13, vcc_lo
	v_add_co_ci_u32_e32 v10, vcc_lo, 0, v14, vcc_lo
	v_add_co_u32 v8, vcc_lo, v9, v8
	v_add_co_ci_u32_e32 v9, vcc_lo, 0, v10, vcc_lo
	v_add_co_u32 v4, vcc_lo, v4, v8
	v_add_co_ci_u32_e32 v11, vcc_lo, v7, v9, vcc_lo
	v_mul_hi_u32 v13, v5, v4
	v_mad_u64_u32 v[9:10], null, v6, v4, 0
	v_mad_u64_u32 v[7:8], null, v5, v11, 0
	;; [unrolled: 1-line block ×3, first 2 shown]
	v_add_co_u32 v4, vcc_lo, v13, v7
	v_add_co_ci_u32_e32 v7, vcc_lo, 0, v8, vcc_lo
	v_add_co_u32 v4, vcc_lo, v4, v9
	v_add_co_ci_u32_e32 v4, vcc_lo, v7, v10, vcc_lo
	v_add_co_ci_u32_e32 v7, vcc_lo, 0, v12, vcc_lo
	v_add_co_u32 v4, vcc_lo, v4, v11
	v_add_co_ci_u32_e32 v9, vcc_lo, 0, v7, vcc_lo
	v_mul_lo_u32 v10, s19, v4
	v_mad_u64_u32 v[7:8], null, s18, v4, 0
	v_mul_lo_u32 v11, s18, v9
	v_sub_co_u32 v7, vcc_lo, v5, v7
	v_add3_u32 v8, v8, v11, v10
	v_sub_nc_u32_e32 v10, v6, v8
	v_subrev_co_ci_u32_e64 v10, s0, s19, v10, vcc_lo
	v_add_co_u32 v11, s0, v4, 2
	v_add_co_ci_u32_e64 v12, s0, 0, v9, s0
	v_sub_co_u32 v13, s0, v7, s18
	v_sub_co_ci_u32_e32 v8, vcc_lo, v6, v8, vcc_lo
	v_subrev_co_ci_u32_e64 v10, s0, 0, v10, s0
	v_cmp_le_u32_e32 vcc_lo, s18, v13
	v_cmp_eq_u32_e64 s0, s19, v8
	v_cndmask_b32_e64 v13, 0, -1, vcc_lo
	v_cmp_le_u32_e32 vcc_lo, s19, v10
	v_cndmask_b32_e64 v14, 0, -1, vcc_lo
	v_cmp_le_u32_e32 vcc_lo, s18, v7
	;; [unrolled: 2-line block ×3, first 2 shown]
	v_cndmask_b32_e64 v15, 0, -1, vcc_lo
	v_cmp_eq_u32_e32 vcc_lo, s19, v10
	v_cndmask_b32_e64 v7, v15, v7, s0
	v_cndmask_b32_e32 v10, v14, v13, vcc_lo
	v_add_co_u32 v13, vcc_lo, v4, 1
	v_add_co_ci_u32_e32 v14, vcc_lo, 0, v9, vcc_lo
	v_cmp_ne_u32_e32 vcc_lo, 0, v10
	v_cndmask_b32_e32 v8, v14, v12, vcc_lo
	v_cndmask_b32_e32 v10, v13, v11, vcc_lo
	v_cmp_ne_u32_e32 vcc_lo, 0, v7
	v_cndmask_b32_e32 v8, v9, v8, vcc_lo
	v_cndmask_b32_e32 v7, v4, v10, vcc_lo
.LBB0_4:                                ;   in Loop: Header=BB0_2 Depth=1
	s_andn2_saveexec_b32 s0, s1
	s_cbranch_execz .LBB0_6
; %bb.5:                                ;   in Loop: Header=BB0_2 Depth=1
	v_cvt_f32_u32_e32 v4, s18
	s_sub_i32 s1, 0, s18
	v_rcp_iflag_f32_e32 v4, v4
	v_mul_f32_e32 v4, 0x4f7ffffe, v4
	v_cvt_u32_f32_e32 v4, v4
	v_mul_lo_u32 v7, s1, v4
	v_mul_hi_u32 v7, v4, v7
	v_add_nc_u32_e32 v4, v4, v7
	v_mul_hi_u32 v4, v5, v4
	v_mul_lo_u32 v7, v4, s18
	v_add_nc_u32_e32 v8, 1, v4
	v_sub_nc_u32_e32 v7, v5, v7
	v_subrev_nc_u32_e32 v9, s18, v7
	v_cmp_le_u32_e32 vcc_lo, s18, v7
	v_cndmask_b32_e32 v7, v7, v9, vcc_lo
	v_cndmask_b32_e32 v4, v4, v8, vcc_lo
	v_cmp_le_u32_e32 vcc_lo, s18, v7
	v_add_nc_u32_e32 v8, 1, v4
	v_cndmask_b32_e32 v7, v4, v8, vcc_lo
	v_mov_b32_e32 v8, v3
.LBB0_6:                                ;   in Loop: Header=BB0_2 Depth=1
	s_or_b32 exec_lo, exec_lo, s0
	s_load_dwordx2 s[0:1], s[6:7], 0x0
	v_mul_lo_u32 v4, v8, s18
	v_mul_lo_u32 v11, v7, s19
	v_mad_u64_u32 v[9:10], null, v7, s18, 0
	s_add_u32 s16, s16, 1
	s_addc_u32 s17, s17, 0
	s_add_u32 s6, s6, 8
	s_addc_u32 s7, s7, 0
	;; [unrolled: 2-line block ×3, first 2 shown]
	v_add3_u32 v4, v10, v11, v4
	v_sub_co_u32 v5, vcc_lo, v5, v9
	v_sub_co_ci_u32_e32 v4, vcc_lo, v6, v4, vcc_lo
	s_waitcnt lgkmcnt(0)
	v_mul_lo_u32 v6, s1, v5
	v_mul_lo_u32 v4, s0, v4
	v_mad_u64_u32 v[1:2], null, s0, v5, v[1:2]
	v_cmp_ge_u64_e64 s0, s[16:17], s[10:11]
	s_and_b32 vcc_lo, exec_lo, s0
	v_add3_u32 v2, v6, v2, v4
	s_cbranch_vccnz .LBB0_9
; %bb.7:                                ;   in Loop: Header=BB0_2 Depth=1
	v_mov_b32_e32 v5, v7
	v_mov_b32_e32 v6, v8
	s_branch .LBB0_2
.LBB0_8:
	v_mov_b32_e32 v8, v6
	v_mov_b32_e32 v7, v5
.LBB0_9:
	s_lshl_b64 s[0:1], s[10:11], 3
	v_mul_hi_u32 v5, 0x1a98ef7, v0
	s_add_u32 s0, s12, s0
	s_addc_u32 s1, s13, s1
	s_load_dwordx2 s[0:1], s[0:1], 0x0
	s_load_dwordx2 s[4:5], s[4:5], 0x20
	s_waitcnt lgkmcnt(0)
	v_mul_lo_u32 v3, s0, v8
	v_mul_lo_u32 v4, s1, v7
	v_mad_u64_u32 v[1:2], null, s0, v7, v[1:2]
	v_cmp_gt_u64_e32 vcc_lo, s[4:5], v[7:8]
	v_add3_u32 v2, v4, v2, v3
	v_mul_u32_u24_e32 v3, 0x9a, v5
	v_lshlrev_b64 v[10:11], 2, v[1:2]
	v_sub_nc_u32_e32 v8, v0, v3
	s_and_saveexec_b32 s1, vcc_lo
	s_cbranch_execz .LBB0_13
; %bb.10:
	v_mov_b32_e32 v9, 0
	v_add_co_u32 v0, s0, s2, v10
	v_add_co_ci_u32_e64 v1, s0, s3, v11, s0
	v_lshlrev_b64 v[2:3], 2, v[8:9]
	s_mov_b32 s4, exec_lo
	v_add_co_u32 v2, s0, v0, v2
	v_add_co_ci_u32_e64 v3, s0, v1, v3, s0
	v_add_co_u32 v4, s0, 0x800, v2
	v_add_co_ci_u32_e64 v5, s0, 0, v3, s0
	;; [unrolled: 2-line block ×4, first 2 shown]
	s_clause 0xa
	global_load_dword v14, v[2:3], off
	global_load_dword v15, v[2:3], off offset:616
	global_load_dword v16, v[2:3], off offset:1232
	;; [unrolled: 1-line block ×10, first 2 shown]
	v_lshl_add_u32 v12, v8, 2, 0
	v_add_nc_u32_e32 v13, 0x400, v12
	v_add_nc_u32_e32 v19, 0x900, v12
	;; [unrolled: 1-line block ×4, first 2 shown]
	s_waitcnt vmcnt(9)
	ds_write2_b32 v12, v14, v15 offset1:154
	s_waitcnt vmcnt(7)
	ds_write2_b32 v13, v16, v2 offset0:52 offset1:206
	s_waitcnt vmcnt(5)
	ds_write2_b32 v19, v3, v17 offset0:40 offset1:194
	;; [unrolled: 2-line block ×4, first 2 shown]
	s_waitcnt vmcnt(0)
	ds_write_b32 v12, v7 offset:6160
	v_cmpx_eq_u32_e32 0x99, v8
	s_cbranch_execz .LBB0_12
; %bb.11:
	v_add_co_u32 v0, s0, 0x1800, v0
	v_add_co_ci_u32_e64 v1, s0, 0, v1, s0
	v_mov_b32_e32 v8, 0x99
	global_load_dword v0, v[0:1], off offset:632
	s_waitcnt vmcnt(0)
	ds_write_b32 v9, v0 offset:6776
.LBB0_12:
	s_or_b32 exec_lo, exec_lo, s4
.LBB0_13:
	s_or_b32 exec_lo, exec_lo, s1
	v_lshlrev_b32_e32 v0, 2, v8
	s_waitcnt lgkmcnt(0)
	s_barrier
	buffer_gl0_inv
	s_add_u32 s1, s8, 0x1a4c
	v_add_nc_u32_e32 v25, 0, v0
	v_sub_nc_u32_e32 v2, 0, v0
	s_addc_u32 s4, s9, 0
	s_mov_b32 s5, exec_lo
                                        ; implicit-def: $vgpr0_vgpr1
	ds_read_u16 v5, v25
	ds_read_u16 v6, v2 offset:6776
	s_waitcnt lgkmcnt(0)
	v_add_f16_e32 v4, v6, v5
	v_sub_f16_e32 v3, v5, v6
	v_cmpx_ne_u32_e32 0, v8
	s_xor_b32 s5, exec_lo, s5
	s_cbranch_execz .LBB0_15
; %bb.14:
	v_mov_b32_e32 v9, 0
	v_add_f16_e32 v4, v6, v5
	v_sub_f16_e32 v5, v5, v6
	v_lshlrev_b64 v[0:1], 2, v[8:9]
	v_add_co_u32 v0, s0, s1, v0
	v_add_co_ci_u32_e64 v1, s0, s4, v1, s0
	global_load_dword v0, v[0:1], off
	ds_read_u16 v1, v2 offset:6778
	ds_read_u16 v3, v25 offset:2
	s_waitcnt lgkmcnt(0)
	v_add_f16_e32 v6, v1, v3
	v_sub_f16_e32 v1, v3, v1
	s_waitcnt vmcnt(0)
	v_lshrrev_b32_e32 v7, 16, v0
	v_fma_f16 v12, -v5, v7, v4
	v_fma_f16 v13, v6, v7, -v1
	v_fma_f16 v3, v6, v7, v1
	v_fma_f16 v4, v5, v7, v4
	v_fmac_f16_e32 v12, v0, v6
	v_fmac_f16_e32 v13, v5, v0
	;; [unrolled: 1-line block ×3, first 2 shown]
	v_fma_f16 v4, -v0, v6, v4
	v_mov_b32_e32 v0, v8
	v_mov_b32_e32 v1, v9
	v_pack_b32_f16 v5, v12, v13
	ds_write_b32 v2, v5 offset:6776
.LBB0_15:
	s_andn2_saveexec_b32 s0, s5
	s_cbranch_execz .LBB0_17
; %bb.16:
	v_mov_b32_e32 v5, 0
	ds_read_b32 v0, v5 offset:3388
	s_waitcnt lgkmcnt(0)
	v_pk_mul_f16 v6, 0xc0004000, v0
	v_mov_b32_e32 v0, 0
	v_mov_b32_e32 v1, 0
	ds_write_b32 v5, v6 offset:3388
.LBB0_17:
	s_or_b32 exec_lo, exec_lo, s0
	v_lshlrev_b64 v[0:1], 2, v[0:1]
	v_perm_b32 v3, v3, v4, 0x5040100
	v_add_co_u32 v0, s0, s1, v0
	v_add_co_ci_u32_e64 v1, s0, s4, v1, s0
	s_clause 0x2
	global_load_dword v5, v[0:1], off offset:616
	global_load_dword v6, v[0:1], off offset:1232
	;; [unrolled: 1-line block ×3, first 2 shown]
	v_add_co_u32 v0, s0, 0x800, v0
	v_add_co_ci_u32_e64 v1, s0, 0, v1, s0
	ds_write_b32 v25, v3
	v_cmp_gt_u32_e64 s0, 0x4d, v8
	global_load_dword v9, v[0:1], off offset:416
	ds_read_b32 v3, v25 offset:616
	ds_read_b32 v4, v2 offset:6160
	s_waitcnt lgkmcnt(0)
	v_add_f16_e32 v12, v3, v4
	v_add_f16_sdwa v13, v4, v3 dst_sel:DWORD dst_unused:UNUSED_PAD src0_sel:WORD_1 src1_sel:WORD_1
	v_sub_f16_e32 v14, v3, v4
	v_sub_f16_sdwa v3, v3, v4 dst_sel:DWORD dst_unused:UNUSED_PAD src0_sel:WORD_1 src1_sel:WORD_1
	s_waitcnt vmcnt(3)
	v_lshrrev_b32_e32 v15, 16, v5
	v_fma_f16 v4, v14, v15, v12
	v_fma_f16 v16, v13, v15, v3
	v_fma_f16 v12, -v14, v15, v12
	v_fma_f16 v3, v13, v15, -v3
	v_fma_f16 v4, -v5, v13, v4
	v_fmac_f16_e32 v16, v14, v5
	v_fmac_f16_e32 v12, v5, v13
	;; [unrolled: 1-line block ×3, first 2 shown]
	s_waitcnt vmcnt(2)
	v_lshrrev_b32_e32 v5, 16, v6
	v_pack_b32_f16 v4, v4, v16
	v_pack_b32_f16 v3, v12, v3
	ds_write_b32 v25, v4 offset:616
	ds_write_b32 v2, v3 offset:6160
	ds_read_b32 v3, v25 offset:1232
	ds_read_b32 v4, v2 offset:5544
	s_waitcnt lgkmcnt(0)
	v_add_f16_e32 v12, v3, v4
	v_add_f16_sdwa v13, v4, v3 dst_sel:DWORD dst_unused:UNUSED_PAD src0_sel:WORD_1 src1_sel:WORD_1
	v_sub_f16_e32 v14, v3, v4
	v_sub_f16_sdwa v3, v3, v4 dst_sel:DWORD dst_unused:UNUSED_PAD src0_sel:WORD_1 src1_sel:WORD_1
	v_fma_f16 v4, v14, v5, v12
	v_fma_f16 v15, v13, v5, v3
	v_fma_f16 v12, -v14, v5, v12
	v_fma_f16 v3, v13, v5, -v3
	s_waitcnt vmcnt(1)
	v_lshrrev_b32_e32 v5, 16, v7
	v_fma_f16 v4, -v6, v13, v4
	v_fmac_f16_e32 v15, v14, v6
	v_fmac_f16_e32 v12, v6, v13
	;; [unrolled: 1-line block ×3, first 2 shown]
	v_pack_b32_f16 v4, v4, v15
	v_pack_b32_f16 v3, v12, v3
	ds_write_b32 v25, v4 offset:1232
	ds_write_b32 v2, v3 offset:5544
	ds_read_b32 v3, v25 offset:1848
	ds_read_b32 v4, v2 offset:4928
	s_waitcnt lgkmcnt(0)
	v_add_f16_e32 v6, v3, v4
	v_add_f16_sdwa v12, v4, v3 dst_sel:DWORD dst_unused:UNUSED_PAD src0_sel:WORD_1 src1_sel:WORD_1
	v_sub_f16_e32 v13, v3, v4
	v_sub_f16_sdwa v3, v3, v4 dst_sel:DWORD dst_unused:UNUSED_PAD src0_sel:WORD_1 src1_sel:WORD_1
	v_fma_f16 v4, v13, v5, v6
	v_fma_f16 v14, v12, v5, v3
	v_fma_f16 v6, -v13, v5, v6
	v_fma_f16 v3, v12, v5, -v3
	s_waitcnt vmcnt(0)
	v_lshrrev_b32_e32 v5, 16, v9
	v_fma_f16 v4, -v7, v12, v4
	v_fmac_f16_e32 v14, v13, v7
	v_fmac_f16_e32 v6, v7, v12
	;; [unrolled: 1-line block ×3, first 2 shown]
	v_pack_b32_f16 v4, v4, v14
	v_pack_b32_f16 v3, v6, v3
	ds_write_b32 v25, v4 offset:1848
	ds_write_b32 v2, v3 offset:4928
	ds_read_b32 v3, v25 offset:2464
	ds_read_b32 v4, v2 offset:4312
	s_waitcnt lgkmcnt(0)
	v_add_f16_e32 v6, v3, v4
	v_add_f16_sdwa v7, v4, v3 dst_sel:DWORD dst_unused:UNUSED_PAD src0_sel:WORD_1 src1_sel:WORD_1
	v_sub_f16_e32 v12, v3, v4
	v_sub_f16_sdwa v3, v3, v4 dst_sel:DWORD dst_unused:UNUSED_PAD src0_sel:WORD_1 src1_sel:WORD_1
	v_fma_f16 v4, v12, v5, v6
	v_fma_f16 v13, v7, v5, v3
	v_fma_f16 v6, -v12, v5, v6
	v_fma_f16 v3, v7, v5, -v3
	v_fma_f16 v4, -v9, v7, v4
	v_fmac_f16_e32 v13, v12, v9
	v_fmac_f16_e32 v6, v9, v7
	;; [unrolled: 1-line block ×3, first 2 shown]
	v_pack_b32_f16 v4, v4, v13
	v_pack_b32_f16 v3, v6, v3
	ds_write_b32 v25, v4 offset:2464
	ds_write_b32 v2, v3 offset:4312
	s_and_saveexec_b32 s1, s0
	s_cbranch_execz .LBB0_19
; %bb.18:
	global_load_dword v0, v[0:1], off offset:1032
	ds_read_b32 v1, v25 offset:3080
	ds_read_b32 v3, v2 offset:3696
	s_waitcnt lgkmcnt(0)
	v_add_f16_e32 v4, v1, v3
	v_add_f16_sdwa v5, v3, v1 dst_sel:DWORD dst_unused:UNUSED_PAD src0_sel:WORD_1 src1_sel:WORD_1
	v_sub_f16_e32 v6, v1, v3
	v_sub_f16_sdwa v1, v1, v3 dst_sel:DWORD dst_unused:UNUSED_PAD src0_sel:WORD_1 src1_sel:WORD_1
	s_waitcnt vmcnt(0)
	v_lshrrev_b32_e32 v7, 16, v0
	v_fma_f16 v3, v6, v7, v4
	v_fma_f16 v9, v5, v7, v1
	v_fma_f16 v4, -v6, v7, v4
	v_fma_f16 v1, v5, v7, -v1
	v_fma_f16 v3, -v0, v5, v3
	v_fmac_f16_e32 v9, v6, v0
	v_fmac_f16_e32 v4, v0, v5
	v_fmac_f16_e32 v1, v6, v0
	v_pack_b32_f16 v0, v3, v9
	v_pack_b32_f16 v1, v4, v1
	ds_write_b32 v25, v0 offset:3080
	ds_write_b32 v2, v1 offset:3696
.LBB0_19:
	s_or_b32 exec_lo, exec_lo, s1
	s_waitcnt lgkmcnt(0)
	s_barrier
	buffer_gl0_inv
	s_barrier
	buffer_gl0_inv
	ds_read2_b32 v[0:1], v25 offset1:154
	v_add_nc_u32_e32 v15, 0x400, v25
	ds_read2_b32 v[2:3], v15 offset0:52 offset1:206
	ds_read_b32 v14, v25 offset:6160
	v_add_nc_u32_e32 v4, 0x900, v25
	v_add_nc_u32_e32 v12, 0xe00, v25
	;; [unrolled: 1-line block ×3, first 2 shown]
	v_mov_b32_e32 v17, 0x36a6
	v_mov_b32_e32 v18, 0xbbeb
	ds_read2_b32 v[4:5], v4 offset0:40 offset1:194
	ds_read2_b32 v[12:13], v12 offset0:28 offset1:182
	;; [unrolled: 1-line block ×3, first 2 shown]
	v_mov_b32_e32 v19, 0xb08e
	v_mov_b32_e32 v16, 0xbb47
	;; [unrolled: 1-line block ×5, first 2 shown]
	s_waitcnt lgkmcnt(5)
	v_pk_add_f16 v20, v0, v1
	v_mov_b32_e32 v43, 0xbbad
	v_mov_b32_e32 v46, 0x3beb
	v_mov_b32_e32 v47, 0x3b47
	v_mov_b32_e32 v49, 0xb853
	s_waitcnt lgkmcnt(4)
	v_pk_add_f16 v20, v20, v2
	s_waitcnt lgkmcnt(3)
	v_pk_add_f16 v23, v1, v14 neg_lo:[0,1] neg_hi:[0,1]
	v_pk_add_f16 v1, v14, v1
	v_mov_b32_e32 v50, 0x3abb
	v_mad_u32_u24 v9, v8, 40, v25
	v_pk_add_f16 v20, v20, v3
	v_pk_mul_f16 v24, 0xb853, v23 op_sel_hi:[0,1]
	v_mul_f16_sdwa v26, v1, v17 dst_sel:DWORD dst_unused:UNUSED_PAD src0_sel:WORD_1 src1_sel:DWORD
	v_mul_f16_sdwa v18, v23, v18 dst_sel:DWORD dst_unused:UNUSED_PAD src0_sel:WORD_1 src1_sel:DWORD
	s_waitcnt lgkmcnt(0)
	v_pk_add_f16 v30, v7, v2
	v_pk_add_f16 v20, v20, v4
	v_pk_add_f16 v2, v2, v7 neg_lo:[0,1] neg_hi:[0,1]
	v_mul_f16_sdwa v27, v1, v19 dst_sel:DWORD dst_unused:UNUSED_PAD src0_sel:WORD_1 src1_sel:DWORD
	v_pk_fma_f16 v31, 0x3abb, v1, v24 op_sel:[0,0,1] op_sel_hi:[0,1,0]
	v_pk_fma_f16 v24, 0x3abb, v1, v24 op_sel:[0,0,1] op_sel_hi:[0,1,0] neg_lo:[0,0,1] neg_hi:[0,0,1]
	v_pk_add_f16 v20, v20, v5
	v_pk_mul_f16 v36, 0xbb47, v2 op_sel_hi:[0,1]
	v_mul_f16_sdwa v16, v23, v16 dst_sel:DWORD dst_unused:UNUSED_PAD src0_sel:WORD_1 src1_sel:DWORD
	v_fmamk_f16 v33, v23, 0x3b47, v26
	v_fmac_f16_e32 v26, 0xbb47, v23
	v_pk_add_f16 v20, v20, v12
	v_fmamk_f16 v34, v1, 0xb08e, v18
	v_fmamk_f16 v35, v23, 0x3beb, v27
	v_bfi_b32 v37, 0xffff, v31, v24
	v_pk_fma_f16 v38, 0x36a6, v30, v36 op_sel:[0,0,1] op_sel_hi:[0,1,0]
	v_pk_add_f16 v20, v20, v13
	v_pk_fma_f16 v36, 0x36a6, v30, v36 op_sel:[0,0,1] op_sel_hi:[0,1,0] neg_lo:[0,0,1] neg_hi:[0,0,1]
	v_fmamk_f16 v32, v1, 0x36a6, v16
	v_mul_f16_sdwa v40, v2, v21 dst_sel:DWORD dst_unused:UNUSED_PAD src0_sel:WORD_1 src1_sel:DWORD
	v_fma_f16 v16, v1, 0x36a6, -v16
	v_pk_add_f16 v20, v20, v6
	v_bfi_b32 v39, 0xffff, v38, v36
	v_add_f16_e32 v32, v0, v32
	v_fma_f16 v18, v1, 0xb08e, -v18
	v_add_f16_e32 v16, v0, v16
	v_pk_add_f16 v7, v20, v7
	v_add_f16_sdwa v20, v0, v26 dst_sel:DWORD dst_unused:UNUSED_PAD src0_sel:WORD_1 src1_sel:DWORD
	v_add_f16_e32 v26, v0, v34
	v_add_f16_sdwa v34, v0, v35 dst_sel:DWORD dst_unused:UNUSED_PAD src0_sel:WORD_1 src1_sel:DWORD
	v_pk_add_f16 v35, v0, v37
	v_mul_f16_sdwa v41, v30, v22 dst_sel:DWORD dst_unused:UNUSED_PAD src0_sel:WORD_1 src1_sel:DWORD
	v_mul_f16_sdwa v28, v23, v21 dst_sel:DWORD dst_unused:UNUSED_PAD src0_sel:WORD_1 src1_sel:DWORD
	v_add_f16_sdwa v33, v0, v33 dst_sel:DWORD dst_unused:UNUSED_PAD src0_sel:WORD_1 src1_sel:DWORD
	v_pk_add_f16 v7, v7, v14
	v_pk_add_f16 v35, v39, v35
	v_fmamk_f16 v39, v30, 0xb93d, v40
	v_fma_f16 v40, v30, 0xb93d, -v40
	v_add_f16_e32 v14, v0, v18
	v_fmamk_f16 v44, v2, 0x3a0c, v41
	v_mul_f16_sdwa v45, v30, v43 dst_sel:DWORD dst_unused:UNUSED_PAD src0_sel:WORD_1 src1_sel:DWORD
	v_add_f16_e32 v32, v39, v32
	v_mul_f16_sdwa v39, v2, v42 dst_sel:DWORD dst_unused:UNUSED_PAD src0_sel:WORD_1 src1_sel:DWORD
	v_add_f16_e32 v16, v40, v16
	v_mul_f16_sdwa v29, v1, v22 dst_sel:DWORD dst_unused:UNUSED_PAD src0_sel:WORD_1 src1_sel:DWORD
	v_fmac_f16_e32 v27, 0xbbeb, v23
	v_fmamk_f16 v18, v1, 0xb93d, v28
	v_fmamk_f16 v40, v30, 0xbbad, v39
	v_fma_f16 v39, v30, 0xbbad, -v39
	v_add_f16_e32 v33, v44, v33
	v_fmac_f16_e32 v41, 0xba0c, v2
	v_fmamk_f16 v44, v2, 0xb482, v45
	v_add_f16_e32 v26, v40, v26
	v_mul_f16_sdwa v40, v2, v46 dst_sel:DWORD dst_unused:UNUSED_PAD src0_sel:WORD_1 src1_sel:DWORD
	v_add_f16_e32 v14, v39, v14
	v_pk_add_f16 v39, v3, v6 neg_lo:[0,1] neg_hi:[0,1]
	v_add_f16_sdwa v27, v0, v27 dst_sel:DWORD dst_unused:UNUSED_PAD src0_sel:WORD_1 src1_sel:DWORD
	v_fmamk_f16 v37, v23, 0x3a0c, v29
	v_add_f16_e32 v18, v0, v18
	v_fma_f16 v28, v1, 0xb93d, -v28
	v_fmac_f16_e32 v29, 0xba0c, v23
	v_add_f16_e32 v20, v41, v20
	v_add_f16_e32 v34, v44, v34
	v_fmac_f16_e32 v45, 0x3482, v2
	v_mul_f16_sdwa v41, v30, v19 dst_sel:DWORD dst_unused:UNUSED_PAD src0_sel:WORD_1 src1_sel:DWORD
	v_fmamk_f16 v44, v30, 0xb08e, v40
	v_pk_add_f16 v3, v6, v3
	v_pk_mul_f16 v6, 0xbbeb, v39 op_sel_hi:[0,1]
	v_add_f16_sdwa v37, v0, v37 dst_sel:DWORD dst_unused:UNUSED_PAD src0_sel:WORD_1 src1_sel:DWORD
	v_add_f16_e32 v28, v0, v28
	v_add_f16_sdwa v29, v0, v29 dst_sel:DWORD dst_unused:UNUSED_PAD src0_sel:WORD_1 src1_sel:DWORD
	v_add_f16_e32 v27, v45, v27
	v_fmamk_f16 v45, v2, 0xbbeb, v41
	v_add_f16_e32 v18, v44, v18
	v_fma_f16 v40, v30, 0xb08e, -v40
	v_pk_fma_f16 v44, 0xb08e, v3, v6 op_sel:[0,0,1] op_sel_hi:[0,1,0]
	v_pk_fma_f16 v6, 0xb08e, v3, v6 op_sel:[0,0,1] op_sel_hi:[0,1,0] neg_lo:[0,0,1] neg_hi:[0,0,1]
	v_fmac_f16_e32 v41, 0x3beb, v2
	v_mul_f16_sdwa v42, v39, v42 dst_sel:DWORD dst_unused:UNUSED_PAD src0_sel:WORD_1 src1_sel:DWORD
	v_add_f16_e32 v37, v45, v37
	v_add_f16_e32 v28, v40, v28
	v_bfi_b32 v40, 0xffff, v44, v6
	v_mul_f16_sdwa v45, v3, v43 dst_sel:DWORD dst_unused:UNUSED_PAD src0_sel:WORD_1 src1_sel:DWORD
	v_add_f16_e32 v29, v41, v29
	v_fmamk_f16 v41, v3, 0xbbad, v42
	v_fma_f16 v42, v3, 0xbbad, -v42
	v_pk_add_f16 v35, v40, v35
	v_fmamk_f16 v40, v39, 0xb482, v45
	v_mul_f16_sdwa v48, v3, v17 dst_sel:DWORD dst_unused:UNUSED_PAD src0_sel:WORD_1 src1_sel:DWORD
	v_add_f16_e32 v32, v41, v32
	v_mul_f16_sdwa v41, v39, v47 dst_sel:DWORD dst_unused:UNUSED_PAD src0_sel:WORD_1 src1_sel:DWORD
	v_add_f16_e32 v16, v42, v16
	v_add_f16_e32 v33, v40, v33
	v_fmac_f16_e32 v45, 0x3482, v39
	v_fmamk_f16 v42, v39, 0xbb47, v48
	v_fmamk_f16 v40, v3, 0x36a6, v41
	v_fma_f16 v41, v3, 0x36a6, -v41
	v_fmac_f16_e32 v48, 0x3b47, v39
	v_add_f16_e32 v20, v45, v20
	v_add_f16_e32 v34, v42, v34
	;; [unrolled: 1-line block ×3, first 2 shown]
	v_mul_f16_sdwa v40, v39, v49 dst_sel:DWORD dst_unused:UNUSED_PAD src0_sel:WORD_1 src1_sel:DWORD
	v_mul_f16_sdwa v42, v3, v50 dst_sel:DWORD dst_unused:UNUSED_PAD src0_sel:WORD_1 src1_sel:DWORD
	v_pk_add_f16 v45, v4, v13 neg_lo:[0,1] neg_hi:[0,1]
	v_pk_add_f16 v4, v13, v4
	v_add_f16_e32 v14, v41, v14
	v_fmamk_f16 v51, v3, 0x3abb, v40
	v_fmamk_f16 v52, v39, 0x3853, v42
	v_pk_mul_f16 v13, 0xba0c, v45 op_sel_hi:[0,1]
	v_fma_f16 v40, v3, 0x3abb, -v40
	v_mul_f16_sdwa v46, v45, v46 dst_sel:DWORD dst_unused:UNUSED_PAD src0_sel:WORD_1 src1_sel:DWORD
	v_fmac_f16_e32 v42, 0xb853, v39
	v_mul_f16_sdwa v19, v4, v19 dst_sel:DWORD dst_unused:UNUSED_PAD src0_sel:WORD_1 src1_sel:DWORD
	v_pk_fma_f16 v41, 0xb93d, v4, v13 op_sel:[0,0,1] op_sel_hi:[0,1,0]
	v_pk_fma_f16 v13, 0xb93d, v4, v13 op_sel:[0,0,1] op_sel_hi:[0,1,0] neg_lo:[0,0,1] neg_hi:[0,0,1]
	v_add_f16_e32 v28, v40, v28
	v_fmamk_f16 v40, v4, 0xb08e, v46
	v_add_f16_e32 v29, v42, v29
	v_fmamk_f16 v42, v45, 0xbbeb, v19
	v_add_f16_e32 v27, v48, v27
	v_bfi_b32 v48, 0xffff, v41, v13
	v_fma_f16 v46, v4, 0xb08e, -v46
	v_add_f16_e32 v32, v40, v32
	v_mul_f16_sdwa v40, v45, v49 dst_sel:DWORD dst_unused:UNUSED_PAD src0_sel:WORD_1 src1_sel:DWORD
	v_add_f16_e32 v33, v42, v33
	v_mul_f16_sdwa v42, v4, v50 dst_sel:DWORD dst_unused:UNUSED_PAD src0_sel:WORD_1 src1_sel:DWORD
	v_pk_add_f16 v35, v48, v35
	v_add_f16_e32 v16, v46, v16
	v_fmac_f16_e32 v19, 0x3beb, v45
	v_fmamk_f16 v46, v4, 0x3abb, v40
	v_mov_b32_e32 v48, 0xb482
	v_fmamk_f16 v49, v45, 0x3853, v42
	v_fma_f16 v40, v4, 0x3abb, -v40
	v_fmac_f16_e32 v42, 0xb853, v45
	v_add_f16_e32 v19, v19, v20
	v_add_f16_e32 v20, v46, v26
	v_mul_f16_sdwa v26, v45, v48 dst_sel:DWORD dst_unused:UNUSED_PAD src0_sel:WORD_1 src1_sel:DWORD
	v_add_f16_e32 v14, v40, v14
	v_pk_add_f16 v40, v5, v12 neg_lo:[0,1] neg_hi:[0,1]
	v_add_f16_e32 v27, v42, v27
	v_mov_b32_e32 v42, 0x3853
	v_fmamk_f16 v46, v4, 0xbbad, v26
	v_pk_add_f16 v5, v12, v5
	v_fma_f16 v26, v4, 0xbbad, -v26
	v_add_f16_e32 v18, v51, v18
	v_mul_f16_sdwa v42, v40, v42 dst_sel:DWORD dst_unused:UNUSED_PAD src0_sel:WORD_1 src1_sel:DWORD
	v_add_f16_e32 v34, v49, v34
	v_mul_f16_sdwa v43, v4, v43 dst_sel:DWORD dst_unused:UNUSED_PAD src0_sel:WORD_1 src1_sel:DWORD
	v_pk_mul_f16 v12, 0xb482, v40 op_sel_hi:[0,1]
	v_add_f16_e32 v26, v26, v28
	v_fmamk_f16 v28, v5, 0x3abb, v42
	v_mul_f16_sdwa v49, v5, v50 dst_sel:DWORD dst_unused:UNUSED_PAD src0_sel:WORD_1 src1_sel:DWORD
	v_add_f16_e32 v37, v52, v37
	v_add_f16_e32 v18, v46, v18
	v_fmamk_f16 v46, v45, 0x3482, v43
	v_pk_fma_f16 v48, 0xbbad, v5, v12 op_sel:[0,0,1] op_sel_hi:[0,1,0]
	v_pk_fma_f16 v12, 0xbbad, v5, v12 op_sel:[0,0,1] op_sel_hi:[0,1,0] neg_lo:[0,0,1] neg_hi:[0,0,1]
	v_fmac_f16_e32 v43, 0xb482, v45
	v_mul_f16_sdwa v21, v40, v21 dst_sel:DWORD dst_unused:UNUSED_PAD src0_sel:WORD_1 src1_sel:DWORD
	v_add_f16_e32 v28, v28, v32
	v_fmamk_f16 v32, v40, 0xb853, v49
	v_fma_f16 v42, v5, 0x3abb, -v42
	v_mul_f16_sdwa v22, v5, v22 dst_sel:DWORD dst_unused:UNUSED_PAD src0_sel:WORD_1 src1_sel:DWORD
	v_add_f16_e32 v37, v46, v37
	v_bfi_b32 v46, 0xffff, v48, v12
	v_add_f16_e32 v29, v43, v29
	v_fmamk_f16 v43, v5, 0xb93d, v21
	v_add_f16_e32 v32, v32, v33
	v_add_f16_e32 v16, v42, v16
	v_fmamk_f16 v33, v40, 0x3a0c, v22
	v_fma_f16 v21, v5, 0xb93d, -v21
	v_fmac_f16_e32 v22, 0xba0c, v40
	v_mul_f16_sdwa v42, v40, v47 dst_sel:DWORD dst_unused:UNUSED_PAD src0_sel:WORD_1 src1_sel:DWORD
	v_mul_f16_sdwa v17, v5, v17 dst_sel:DWORD dst_unused:UNUSED_PAD src0_sel:WORD_1 src1_sel:DWORD
	v_pk_add_f16 v35, v46, v35
	v_add_f16_e32 v14, v21, v14
	v_add_f16_e32 v21, v22, v27
	v_fmamk_f16 v22, v5, 0x36a6, v42
	v_fmamk_f16 v27, v40, 0xbb47, v17
	v_pk_mul_f16 v1, 0xbbad, v1 op_sel_hi:[0,1]
	s_barrier
	buffer_gl0_inv
	v_fmac_f16_e32 v17, 0x3b47, v40
	v_add_f16_e32 v18, v22, v18
	v_add_f16_e32 v22, v27, v37
	v_pk_fma_f16 v27, 0xb482, v23, v1 op_sel:[0,0,1] op_sel_hi:[0,1,0]
	ds_write2_b32 v9, v7, v35 offset1:1
	v_pk_mul_f16 v7, 0x3abb, v30 op_sel_hi:[0,1]
	v_add_f16_e32 v17, v17, v29
	v_pk_fma_f16 v1, 0xb482, v23, v1 op_sel:[0,0,1] op_sel_hi:[0,1,0] neg_lo:[0,1,0] neg_hi:[0,1,0]
	v_alignbit_b32 v29, s0, v27, 16
	v_pk_mul_f16 v3, 0xb93d, v3 op_sel_hi:[0,1]
	v_pk_fma_f16 v23, 0x3853, v2, v7 op_sel:[0,0,1] op_sel_hi:[0,1,0]
	v_pack_b32_f16 v28, v28, v32
	v_alignbit_b32 v30, s0, v0, 16
	v_pk_add_f16 v29, v0, v29
	v_pk_add_f16 v1, v0, v1 op_sel:[1,0] op_sel_hi:[0,1]
	v_alignbit_b32 v32, s0, v23, 16
	v_pk_fma_f16 v2, 0x3853, v2, v7 op_sel:[0,0,1] op_sel_hi:[0,1,0] neg_lo:[0,1,0] neg_hi:[0,1,0]
	v_pk_fma_f16 v7, 0xba0c, v39, v3 op_sel:[0,0,1] op_sel_hi:[0,1,0]
	v_pk_mul_f16 v4, 0x36a6, v4 op_sel_hi:[0,1]
	v_pk_add_f16 v27, v30, v27
	v_pk_add_f16 v29, v32, v29
	;; [unrolled: 1-line block ×3, first 2 shown]
	v_alignbit_b32 v2, s0, v7, 16
	v_pk_fma_f16 v3, 0xba0c, v39, v3 op_sel:[0,0,1] op_sel_hi:[0,1,0] neg_lo:[0,1,0] neg_hi:[0,1,0]
	v_pk_fma_f16 v30, 0x3b47, v45, v4 op_sel:[0,0,1] op_sel_hi:[0,1,0]
	v_bfi_b32 v24, 0xffff, v24, v31
	v_add_f16_e32 v33, v33, v34
	v_fma_f16 v34, v5, 0x36a6, -v42
	v_pk_add_f16 v23, v23, v27
	v_pk_add_f16 v2, v2, v29
	v_pk_add_f16 v1, v3, v1
	v_alignbit_b32 v3, s0, v30, 16
	v_pk_mul_f16 v5, 0xb08e, v5 op_sel_hi:[0,1]
	v_pk_add_f16 v0, v0, v24
	v_bfi_b32 v24, 0xffff, v36, v38
	v_pk_add_f16 v7, v7, v23
	v_pk_fma_f16 v4, 0x3b47, v45, v4 op_sel:[0,0,1] op_sel_hi:[0,1,0] neg_lo:[0,1,0] neg_hi:[0,1,0]
	v_pk_add_f16 v2, v3, v2
	v_pk_fma_f16 v3, 0xbbeb, v40, v5 op_sel:[0,0,1] op_sel_hi:[0,1,0]
	v_pk_add_f16 v0, v24, v0
	v_bfi_b32 v6, 0xffff, v6, v44
	v_pk_add_f16 v1, v4, v1
	v_pk_fma_f16 v4, 0xbbeb, v40, v5 op_sel:[0,0,1] op_sel_hi:[0,1,0] neg_lo:[0,1,0] neg_hi:[0,1,0]
	v_pk_add_f16 v5, v30, v7
	v_alignbit_b32 v7, s0, v3, 16
	v_fmac_f16_e32 v49, 0x3853, v40
	v_pk_add_f16 v0, v6, v0
	v_bfi_b32 v6, 0xffff, v13, v41
	v_add_f16_e32 v20, v43, v20
	v_pk_add_f16 v1, v4, v1
	v_pk_add_f16 v3, v3, v5
	;; [unrolled: 1-line block ×3, first 2 shown]
	v_add_f16_e32 v26, v34, v26
	v_add_f16_e32 v19, v49, v19
	v_pk_add_f16 v0, v6, v0
	v_bfi_b32 v5, 0xffff, v12, v48
	v_pack_b32_f16 v20, v20, v33
	v_pack_b32_f16 v4, v18, v22
	v_alignbit_b32 v3, v3, v1, 16
	v_pack_b32_f16 v1, v2, v1
	v_pack_b32_f16 v2, v14, v21
	;; [unrolled: 1-line block ×3, first 2 shown]
	v_pk_add_f16 v14, v5, v0
	v_pack_b32_f16 v0, v16, v19
	ds_write2_b32 v9, v28, v20 offset0:2 offset1:3
	ds_write_b32 v9, v4 offset:16
	ds_write2_b32 v9, v1, v3 offset0:5 offset1:6
	ds_write2_b32 v9, v6, v2 offset0:7 offset1:8
	;; [unrolled: 1-line block ×3, first 2 shown]
	v_add_nc_u32_e32 v0, 0x980, v25
	v_add_nc_u32_e32 v4, 0xf00, v25
	;; [unrolled: 1-line block ×3, first 2 shown]
	s_waitcnt lgkmcnt(0)
	s_barrier
	buffer_gl0_inv
	ds_read2_b32 v[2:3], v25 offset1:154
	ds_read2_b32 v[0:1], v0 offset0:8 offset1:239
	ds_read2_b32 v[6:7], v4 offset0:41 offset1:195
	;; [unrolled: 1-line block ×4, first 2 shown]
	v_lshrrev_b32_e32 v15, 16, v14
                                        ; implicit-def: $vgpr17
                                        ; implicit-def: $vgpr16
	s_and_saveexec_b32 s1, s0
	s_cbranch_execz .LBB0_21
; %bb.20:
	v_mad_i32_i24 v9, 0xffffffd8, v8, v9
	ds_read_b32 v14, v9 offset:3080
	ds_read_b32 v16, v25 offset:6468
	s_waitcnt lgkmcnt(1)
	v_lshrrev_b32_e32 v15, 16, v14
	s_waitcnt lgkmcnt(0)
	v_lshrrev_b32_e32 v17, 16, v16
.LBB0_21:
	s_or_b32 exec_lo, exec_lo, s1
	v_and_b32_e32 v9, 0xff, v8
	v_add_nc_u32_e32 v20, 0x134, v8
	v_add_nc_u32_e32 v21, 0x1ce, v8
	;; [unrolled: 1-line block ×4, first 2 shown]
	v_mul_lo_u16 v18, 0x75, v9
	v_add_nc_u32_e32 v9, 0x9a, v8
	v_mov_b32_e32 v27, 2
	v_mov_b32_e32 v38, 0x58
	v_lshrrev_b16 v19, 8, v18
	v_mov_b32_e32 v18, 0xba2f
	v_sub_nc_u16 v23, v8, v19
	v_mul_u32_u24_sdwa v26, v9, v18 dst_sel:DWORD dst_unused:UNUSED_PAD src0_sel:WORD_0 src1_sel:DWORD
	v_mul_u32_u24_sdwa v28, v20, v18 dst_sel:DWORD dst_unused:UNUSED_PAD src0_sel:WORD_0 src1_sel:DWORD
	;; [unrolled: 1-line block ×4, first 2 shown]
	v_lshrrev_b16 v23, 1, v23
	v_mul_u32_u24_sdwa v18, v24, v18 dst_sel:DWORD dst_unused:UNUSED_PAD src0_sel:WORD_0 src1_sel:DWORD
	v_lshrrev_b32_e32 v28, 19, v28
	v_lshrrev_b32_e32 v29, 19, v29
	;; [unrolled: 1-line block ×3, first 2 shown]
	v_and_b32_e32 v23, 0x7f, v23
	v_lshrrev_b32_e32 v18, 19, v18
	v_lshrrev_b32_e32 v26, 19, v26
	v_mul_lo_u16 v31, v28, 11
	v_mul_lo_u16 v33, v29, 11
	v_add_nc_u16 v19, v23, v19
	v_mul_lo_u16 v32, v18, 11
	v_mul_lo_u16 v23, v26, 11
	v_sub_nc_u16 v20, v20, v31
	v_sub_nc_u16 v21, v21, v33
	v_lshrrev_b16 v34, 3, v19
	v_mul_lo_u16 v19, v30, 11
	v_sub_nc_u16 v24, v24, v32
	v_sub_nc_u16 v23, v9, v23
	v_lshlrev_b32_sdwa v21, v27, v21 dst_sel:DWORD dst_unused:UNUSED_PAD src0_sel:DWORD src1_sel:WORD_0
	v_mul_lo_u16 v31, v34, 11
	v_sub_nc_u16 v22, v22, v19
	v_lshlrev_b32_sdwa v19, v27, v24 dst_sel:DWORD dst_unused:UNUSED_PAD src0_sel:DWORD src1_sel:WORD_0
	v_lshlrev_b32_sdwa v20, v27, v20 dst_sel:DWORD dst_unused:UNUSED_PAD src0_sel:DWORD src1_sel:WORD_0
	;; [unrolled: 1-line block ×3, first 2 shown]
	v_sub_nc_u16 v24, v8, v31
	v_lshlrev_b32_sdwa v22, v27, v22 dst_sel:DWORD dst_unused:UNUSED_PAD src0_sel:DWORD src1_sel:WORD_0
	global_load_dword v31, v19, s[8:9]
	v_mul_u32_u24_e32 v26, 0x58, v26
	v_mul_u32_u24_e32 v28, 0x58, v28
	v_lshlrev_b32_sdwa v24, v27, v24 dst_sel:DWORD dst_unused:UNUSED_PAD src0_sel:DWORD src1_sel:BYTE_0
	s_clause 0x4
	global_load_dword v32, v22, s[8:9]
	global_load_dword v33, v21, s[8:9]
	;; [unrolled: 1-line block ×5, first 2 shown]
	v_mul_u32_u24_e32 v29, 0x58, v29
	v_mul_u32_u24_e32 v30, 0x58, v30
	v_add3_u32 v23, 0, v26, v23
	v_add3_u32 v20, 0, v28, v20
	v_mul_u32_u24_sdwa v34, v34, v38 dst_sel:DWORD dst_unused:UNUSED_PAD src0_sel:WORD_0 src1_sel:DWORD
	v_add3_u32 v21, 0, v29, v21
	v_add3_u32 v22, 0, v30, v22
	s_waitcnt vmcnt(0) lgkmcnt(0)
	s_barrier
	v_add3_u32 v24, 0, v34, v24
	buffer_gl0_inv
	v_mul_f16_sdwa v26, v17, v31 dst_sel:DWORD dst_unused:UNUSED_PAD src0_sel:DWORD src1_sel:WORD_1
	v_mul_f16_sdwa v28, v16, v31 dst_sel:DWORD dst_unused:UNUSED_PAD src0_sel:DWORD src1_sel:WORD_1
	v_pk_mul_f16 v29, v32, v13 op_sel:[0,1]
	v_pk_mul_f16 v30, v33, v12 op_sel:[0,1]
	;; [unrolled: 1-line block ×3, first 2 shown]
	v_fmac_f16_e32 v26, v16, v31
	v_fma_f16 v16, v17, v31, -v28
	v_pk_mul_f16 v28, v37, v1 op_sel:[0,1]
	v_pk_mul_f16 v34, v35, v7 op_sel:[0,1]
	v_pk_fma_f16 v17, v32, v13, v29 op_sel:[0,0,1] op_sel_hi:[1,1,0]
	v_pk_fma_f16 v13, v32, v13, v29 op_sel:[0,0,1] op_sel_hi:[1,0,0] neg_lo:[1,0,0] neg_hi:[1,0,0]
	v_pk_fma_f16 v29, v33, v12, v30 op_sel:[0,0,1] op_sel_hi:[1,1,0]
	v_pk_fma_f16 v30, v33, v12, v30 op_sel:[0,0,1] op_sel_hi:[1,0,0] neg_lo:[1,0,0] neg_hi:[1,0,0]
	;; [unrolled: 2-line block ×5, first 2 shown]
	v_bfi_b32 v1, 0xffff, v33, v1
	v_sub_f16_e32 v12, v14, v26
	v_bfi_b32 v6, 0xffff, v32, v6
	v_sub_f16_e32 v26, v15, v16
	v_bfi_b32 v7, 0xffff, v31, v7
	v_bfi_b32 v16, 0xffff, v29, v30
	;; [unrolled: 1-line block ×3, first 2 shown]
	v_pk_add_f16 v1, v2, v1 neg_lo:[0,1] neg_hi:[0,1]
	v_pk_add_f16 v6, v3, v6 neg_lo:[0,1] neg_hi:[0,1]
	;; [unrolled: 1-line block ×5, first 2 shown]
	v_pk_fma_f16 v2, v2, 2.0, v1 op_sel_hi:[1,0,1] neg_lo:[0,0,1] neg_hi:[0,0,1]
	v_pk_fma_f16 v3, v3, 2.0, v6 op_sel_hi:[1,0,1] neg_lo:[0,0,1] neg_hi:[0,0,1]
	;; [unrolled: 1-line block ×5, first 2 shown]
	ds_write2_b32 v24, v2, v1 offset1:11
	ds_write2_b32 v23, v3, v6 offset1:11
	;; [unrolled: 1-line block ×5, first 2 shown]
	s_and_saveexec_b32 s1, s0
	s_cbranch_execz .LBB0_23
; %bb.22:
	v_mul_lo_u16 v0, v18, 22
	v_fma_f16 v1, v14, 2.0, -v12
	v_fma_f16 v2, v15, 2.0, -v26
	v_lshlrev_b32_sdwa v0, v27, v0 dst_sel:DWORD dst_unused:UNUSED_PAD src0_sel:DWORD src1_sel:WORD_0
	v_pack_b32_f16 v1, v1, v2
	v_perm_b32 v2, v26, v12, 0x5040100
	v_add3_u32 v0, 0, v19, v0
	ds_write2_b32 v0, v1, v2 offset1:11
.LBB0_23:
	s_or_b32 exec_lo, exec_lo, s1
	v_lshrrev_b16 v0, 1, v8
	v_mov_b32_e32 v1, 10
	s_waitcnt lgkmcnt(0)
	s_barrier
	buffer_gl0_inv
	v_and_b32_e32 v0, 0x7f, v0
	v_add_nc_u32_e32 v17, 0xe00, v25
	v_add_nc_u32_e32 v18, 0x1200, v25
	v_add_nc_u32_e32 v21, 0x400, v25
	v_add_nc_u32_e32 v22, 0x900, v25
	v_mul_lo_u16 v0, 0xbb, v0
	v_mov_b32_e32 v32, 0x3c8
	v_add_nc_u32_e32 v31, 0x780, v25
	v_cmp_gt_u32_e64 s0, 0x58, v8
	v_lshrrev_b16 v29, 11, v0
	v_mul_lo_u16 v0, v29, 22
	v_mul_u32_u24_sdwa v29, v29, v32 dst_sel:DWORD dst_unused:UNUSED_PAD src0_sel:WORD_0 src1_sel:DWORD
	v_sub_nc_u16 v28, v8, v0
	v_mul_u32_u24_sdwa v0, v28, v1 dst_sel:DWORD dst_unused:UNUSED_PAD src0_sel:BYTE_0 src1_sel:DWORD
	v_lshlrev_b32_sdwa v27, v27, v28 dst_sel:DWORD dst_unused:UNUSED_PAD src0_sel:DWORD src1_sel:BYTE_0
	v_lshlrev_b32_e32 v13, 2, v0
	v_add3_u32 v27, 0, v29, v27
	s_clause 0x2
	global_load_dwordx4 v[0:3], v13, s[8:9] offset:44
	global_load_dwordx4 v[4:7], v13, s[8:9] offset:60
	global_load_dwordx2 v[15:16], v13, s[8:9] offset:76
	ds_read_b32 v30, v25 offset:6160
	ds_read2_b32 v[13:14], v25 offset1:154
	ds_read2_b32 v[19:20], v17 offset0:28 offset1:182
	ds_read2_b32 v[17:18], v18 offset0:80 offset1:234
	;; [unrolled: 1-line block ×4, first 2 shown]
	s_waitcnt vmcnt(0) lgkmcnt(0)
	s_barrier
	buffer_gl0_inv
	v_lshrrev_b32_e32 v33, 16, v30
	v_lshrrev_b32_e32 v34, 16, v14
	;; [unrolled: 1-line block ×10, first 2 shown]
	v_mul_f16_sdwa v29, v0, v34 dst_sel:DWORD dst_unused:UNUSED_PAD src0_sel:WORD_1 src1_sel:DWORD
	v_mul_f16_sdwa v41, v0, v14 dst_sel:DWORD dst_unused:UNUSED_PAD src0_sel:WORD_1 src1_sel:DWORD
	;; [unrolled: 1-line block ×4, first 2 shown]
	v_mul_f16_sdwa v54, v36, v7 dst_sel:DWORD dst_unused:UNUSED_PAD src0_sel:DWORD src1_sel:WORD_1
	v_mul_f16_sdwa v56, v37, v15 dst_sel:DWORD dst_unused:UNUSED_PAD src0_sel:DWORD src1_sel:WORD_1
	;; [unrolled: 1-line block ×5, first 2 shown]
	v_fmac_f16_e32 v29, v0, v14
	v_fma_f16 v0, v0, v34, -v41
	v_mul_f16_sdwa v44, v2, v38 dst_sel:DWORD dst_unused:UNUSED_PAD src0_sel:WORD_1 src1_sel:DWORD
	v_mul_f16_sdwa v45, v2, v24 dst_sel:DWORD dst_unused:UNUSED_PAD src0_sel:WORD_1 src1_sel:DWORD
	v_mul_f16_sdwa v46, v3, v39 dst_sel:DWORD dst_unused:UNUSED_PAD src0_sel:WORD_1 src1_sel:DWORD
	v_mul_f16_sdwa v47, v3, v21 dst_sel:DWORD dst_unused:UNUSED_PAD src0_sel:WORD_1 src1_sel:DWORD
	v_mul_f16_sdwa v48, v4, v40 dst_sel:DWORD dst_unused:UNUSED_PAD src0_sel:WORD_1 src1_sel:DWORD
	v_mul_f16_sdwa v49, v4, v22 dst_sel:DWORD dst_unused:UNUSED_PAD src0_sel:WORD_1 src1_sel:DWORD
	v_mul_f16_sdwa v50, v32, v5 dst_sel:DWORD dst_unused:UNUSED_PAD src0_sel:DWORD src1_sel:WORD_1
	v_mul_f16_sdwa v51, v19, v5 dst_sel:DWORD dst_unused:UNUSED_PAD src0_sel:DWORD src1_sel:WORD_1
	;; [unrolled: 1-line block ×5, first 2 shown]
	v_fmac_f16_e32 v42, v1, v23
	v_fma_f16 v1, v1, v28, -v43
	v_fmac_f16_e32 v54, v17, v7
	v_fmac_f16_e32 v56, v18, v15
	;; [unrolled: 1-line block ×3, first 2 shown]
	v_fma_f16 v14, v33, v16, -v59
	v_fma_f16 v15, v37, v15, -v57
	v_add_f16_e32 v16, v29, v13
	v_add_f16_sdwa v17, v0, v13 dst_sel:DWORD dst_unused:UNUSED_PAD src0_sel:DWORD src1_sel:WORD_1
	v_fmac_f16_e32 v44, v2, v24
	v_fma_f16 v2, v2, v38, -v45
	v_fmac_f16_e32 v46, v3, v21
	v_fma_f16 v3, v3, v39, -v47
	;; [unrolled: 2-line block ×5, first 2 shown]
	v_fma_f16 v7, v36, v7, -v55
	v_add_f16_e32 v19, v0, v14
	v_sub_f16_e32 v0, v0, v14
	v_add_f16_e32 v22, v1, v15
	v_sub_f16_e32 v24, v1, v15
	v_add_f16_e32 v16, v16, v42
	v_add_f16_e32 v1, v17, v1
	v_add_f16_e32 v18, v29, v58
	v_sub_f16_e32 v20, v29, v58
	v_add_f16_e32 v21, v42, v56
	v_sub_f16_e32 v23, v42, v56
	v_sub_f16_e32 v28, v2, v7
	v_add_f16_e32 v30, v2, v7
	v_sub_f16_e32 v33, v3, v6
	v_add_f16_e32 v35, v3, v6
	;; [unrolled: 2-line block ×3, first 2 shown]
	v_mul_f16_e32 v17, 0xb853, v0
	v_mul_f16_e32 v41, 0x3abb, v19
	;; [unrolled: 1-line block ×10, first 2 shown]
	v_add_f16_e32 v1, v1, v2
	v_add_f16_e32 v2, v16, v44
	;; [unrolled: 1-line block ×3, first 2 shown]
	v_sub_f16_e32 v32, v44, v54
	v_add_f16_e32 v34, v46, v52
	v_sub_f16_e32 v36, v46, v52
	v_add_f16_e32 v38, v48, v50
	v_sub_f16_e32 v40, v48, v50
	v_mul_f16_e32 v53, 0xbb47, v24
	v_mul_f16_e32 v55, 0x36a6, v22
	;; [unrolled: 1-line block ×40, first 2 shown]
	v_fmamk_f16 v88, v18, 0x3abb, v17
	v_fmamk_f16 v89, v20, 0x3853, v41
	v_fma_f16 v17, v18, 0x3abb, -v17
	v_fmac_f16_e32 v41, 0xb853, v20
	v_fmamk_f16 v90, v18, 0x36a6, v42
	v_fmamk_f16 v91, v20, 0x3b47, v43
	v_fma_f16 v42, v18, 0x36a6, -v42
	v_fmac_f16_e32 v43, 0xbb47, v20
	;; [unrolled: 4-line block ×5, first 2 shown]
	v_add_f16_e32 v2, v2, v46
	v_add_f16_e32 v1, v1, v3
	v_fmamk_f16 v18, v21, 0x36a6, v53
	v_fmamk_f16 v98, v23, 0x3b47, v55
	v_fma_f16 v53, v21, 0x36a6, -v53
	v_fmac_f16_e32 v55, 0xbb47, v23
	v_fmamk_f16 v99, v21, 0xb93d, v57
	v_fma_f16 v57, v21, 0xb93d, -v57
	v_fmamk_f16 v100, v21, 0xbbad, v60
	v_fma_f16 v60, v21, 0xbbad, -v60
	;; [unrolled: 2-line block ×4, first 2 shown]
	v_fmamk_f16 v24, v23, 0x3a0c, v59
	v_fmac_f16_e32 v59, 0xba0c, v23
	v_fmamk_f16 v103, v23, 0xb482, v61
	v_fmac_f16_e32 v61, 0x3482, v23
	v_fmamk_f16 v104, v23, 0xbbeb, v63
	v_fmac_f16_e32 v63, 0x3beb, v23
	v_fmamk_f16 v105, v23, 0xb853, v22
	v_fmac_f16_e32 v22, 0x3853, v23
	v_fmamk_f16 v23, v29, 0xb08e, v64
	v_fma_f16 v64, v29, 0xb08e, -v64
	v_fmamk_f16 v106, v29, 0xbbad, v65
	v_fma_f16 v65, v29, 0xbbad, -v65
	v_fmamk_f16 v107, v29, 0x36a6, v66
	v_fma_f16 v66, v29, 0x36a6, -v66
	v_fmamk_f16 v108, v29, 0x3abb, v67
	v_fma_f16 v67, v29, 0x3abb, -v67
	v_fmamk_f16 v109, v29, 0xb93d, v28
	v_fma_f16 v28, v29, 0xb93d, -v28
	v_fmamk_f16 v16, v32, 0x3beb, v68
	v_fmac_f16_e32 v68, 0xbbeb, v32
	v_fmamk_f16 v29, v32, 0xb482, v69
	v_fmac_f16_e32 v69, 0x3482, v32
	v_fmamk_f16 v44, v32, 0xbb47, v70
	v_fmac_f16_e32 v70, 0x3b47, v32
	v_fmamk_f16 v110, v32, 0x3853, v71
	v_fmac_f16_e32 v71, 0xb853, v32
	v_fmamk_f16 v111, v32, 0x3a0c, v30
	v_fmac_f16_e32 v30, 0xba0c, v32
	v_fmamk_f16 v32, v34, 0xb93d, v72
	v_fma_f16 v72, v34, 0xb93d, -v72
	v_fmamk_f16 v112, v34, 0xb08e, v73
	v_fma_f16 v73, v34, 0xb08e, -v73
	v_fmamk_f16 v113, v34, 0x3abb, v74
	v_fma_f16 v74, v34, 0x3abb, -v74
	v_fmamk_f16 v114, v34, 0xbbad, v75
	v_fma_f16 v75, v34, 0xbbad, -v75
	v_fmamk_f16 v115, v34, 0x36a6, v33
	v_fma_f16 v33, v34, 0x36a6, -v33
	v_fmamk_f16 v34, v36, 0x3a0c, v76
	v_fmac_f16_e32 v76, 0xba0c, v36
	;; [unrolled: 20-line block ×3, first 2 shown]
	v_fmamk_f16 v124, v40, 0xb853, v85
	v_fmac_f16_e32 v85, 0x3853, v40
	v_fmamk_f16 v125, v40, 0x3a0c, v86
	v_fmac_f16_e32 v86, 0xba0c, v40
	;; [unrolled: 2-line block ×4, first 2 shown]
	v_add_f16_e32 v40, v88, v13
	v_add_f16_sdwa v88, v89, v13 dst_sel:DWORD dst_unused:UNUSED_PAD src0_sel:DWORD src1_sel:WORD_1
	v_add_f16_e32 v17, v17, v13
	v_add_f16_sdwa v41, v41, v13 dst_sel:DWORD dst_unused:UNUSED_PAD src0_sel:DWORD src1_sel:WORD_1
	;; [unrolled: 2-line block ×10, first 2 shown]
	v_add_f16_e32 v2, v2, v48
	v_add_f16_e32 v1, v1, v4
	;; [unrolled: 1-line block ×90, first 2 shown]
	v_pack_b32_f16 v4, v4, v5
	v_pack_b32_f16 v5, v6, v36
	;; [unrolled: 1-line block ×4, first 2 shown]
	v_add_f16_e32 v23, v32, v58
	v_add_f16_e32 v7, v7, v14
	v_pack_b32_f16 v21, v28, v29
	v_pack_b32_f16 v13, v30, v13
	;; [unrolled: 1-line block ×3, first 2 shown]
	v_add_nc_u32_e32 v20, 0xf00, v25
	v_pack_b32_f16 v14, v1, v19
	v_pack_b32_f16 v24, v2, v17
	;; [unrolled: 1-line block ×3, first 2 shown]
	ds_write2_b32 v27, v5, v6 offset0:44 offset1:66
	v_pack_b32_f16 v5, v23, v7
	ds_write2_b32 v27, v15, v21 offset0:88 offset1:110
	ds_write2_b32 v27, v13, v22 offset0:132 offset1:154
	;; [unrolled: 1-line block ×3, first 2 shown]
	ds_write_b32 v27, v28 offset:880
	ds_write2_b32 v27, v5, v4 offset1:22
	s_waitcnt lgkmcnt(0)
	s_barrier
	buffer_gl0_inv
	ds_read2_b32 v[4:5], v25 offset1:242
	ds_read2_b32 v[14:15], v31 offset0:4 offset1:246
	ds_read2_b32 v[6:7], v20 offset0:8 offset1:250
	ds_read_b32 v24, v25 offset:5808
                                        ; implicit-def: $vgpr21
                                        ; implicit-def: $vgpr22
                                        ; implicit-def: $vgpr23
	s_and_saveexec_b32 s1, s0
	s_cbranch_execz .LBB0_25
; %bb.24:
	v_add_nc_u32_e32 v0, 0x240, v25
	v_add_nc_u32_e32 v2, 0x9e0, v25
	;; [unrolled: 1-line block ×3, first 2 shown]
	ds_read_b32 v22, v25 offset:6424
	ds_read2_b32 v[0:1], v0 offset0:10 offset1:252
	ds_read2_b32 v[2:3], v2 offset0:6 offset1:248
	;; [unrolled: 1-line block ×3, first 2 shown]
	ds_read_u16 v17, v25 offset:2554
	s_waitcnt lgkmcnt(4)
	v_lshrrev_b32_e32 v21, 16, v22
	s_waitcnt lgkmcnt(3)
	v_lshrrev_b32_e32 v16, 16, v0
	s_waitcnt lgkmcnt(2)
	v_lshrrev_b32_e32 v18, 16, v3
	s_waitcnt lgkmcnt(1)
	v_lshrrev_b32_e32 v26, 16, v12
	v_lshrrev_b32_e32 v23, 16, v13
	v_lshrrev_b32_e32 v19, 16, v1
.LBB0_25:
	s_or_b32 exec_lo, exec_lo, s1
	v_mul_u32_u24_e32 v27, 6, v8
	s_waitcnt lgkmcnt(0)
	v_lshrrev_b32_e32 v34, 16, v24
	v_lshrrev_b32_e32 v35, 16, v7
	;; [unrolled: 1-line block ×4, first 2 shown]
	v_lshlrev_b32_e32 v32, 2, v27
	v_lshrrev_b32_e32 v39, 16, v14
	v_lshrrev_b32_e32 v38, 16, v15
	s_clause 0x1
	global_load_dwordx4 v[27:30], v32, s[8:9] offset:924
	global_load_dwordx2 v[32:33], v32, s[8:9] offset:940
	s_waitcnt vmcnt(0)
	s_barrier
	buffer_gl0_inv
	v_mul_f16_sdwa v40, v27, v37 dst_sel:DWORD dst_unused:UNUSED_PAD src0_sel:WORD_1 src1_sel:DWORD
	v_mul_f16_sdwa v41, v27, v5 dst_sel:DWORD dst_unused:UNUSED_PAD src0_sel:WORD_1 src1_sel:DWORD
	;; [unrolled: 1-line block ×12, first 2 shown]
	v_fmac_f16_e32 v40, v27, v5
	v_fma_f16 v5, v27, v37, -v41
	v_fmac_f16_e32 v42, v28, v14
	v_fma_f16 v14, v28, v39, -v43
	v_fmac_f16_e32 v46, v30, v6
	v_fmac_f16_e32 v50, v33, v24
	v_fma_f16 v6, v33, v34, -v51
	v_fmac_f16_e32 v48, v32, v7
	v_fma_f16 v7, v32, v35, -v49
	;; [unrolled: 2-line block ×3, first 2 shown]
	v_fma_f16 v24, v30, v36, -v47
	v_add_f16_e32 v27, v40, v50
	v_add_f16_e32 v28, v5, v6
	v_sub_f16_e32 v5, v5, v6
	v_add_f16_e32 v6, v42, v48
	v_add_f16_e32 v30, v14, v7
	v_sub_f16_e32 v32, v42, v48
	v_sub_f16_e32 v7, v14, v7
	v_add_f16_e32 v14, v44, v46
	v_add_f16_e32 v33, v15, v24
	v_sub_f16_e32 v34, v46, v44
	v_sub_f16_e32 v15, v24, v15
	v_add_f16_e32 v24, v6, v27
	v_add_f16_e32 v35, v30, v28
	v_sub_f16_e32 v29, v40, v50
	v_sub_f16_e32 v36, v6, v27
	v_sub_f16_e32 v37, v30, v28
	;; [unrolled: 1-line block ×6, first 2 shown]
	v_add_f16_e32 v38, v34, v32
	v_add_f16_e32 v39, v15, v7
	v_sub_f16_e32 v40, v34, v32
	v_sub_f16_e32 v41, v15, v7
	;; [unrolled: 1-line block ×3, first 2 shown]
	v_add_f16_e32 v14, v14, v24
	v_add_f16_e32 v24, v33, v35
	v_sub_f16_e32 v32, v32, v29
	v_sub_f16_e32 v34, v29, v34
	;; [unrolled: 1-line block ×3, first 2 shown]
	v_add_f16_e32 v29, v38, v29
	v_add_f16_e32 v5, v39, v5
	v_mul_f16_e32 v27, 0x3a52, v27
	v_mul_f16_e32 v28, 0x3a52, v28
	;; [unrolled: 1-line block ×7, first 2 shown]
	v_add_f16_e32 v42, v14, v4
	v_add_f16_sdwa v4, v24, v4 dst_sel:DWORD dst_unused:UNUSED_PAD src0_sel:DWORD src1_sel:WORD_1
	v_mul_f16_e32 v40, 0xbb00, v32
	v_fmamk_f16 v6, v6, 0x2b26, v27
	v_fmamk_f16 v30, v30, 0x2b26, v28
	v_fma_f16 v33, v36, 0x39e0, -v33
	v_fma_f16 v35, v37, 0x39e0, -v35
	;; [unrolled: 1-line block ×4, first 2 shown]
	v_fmamk_f16 v36, v34, 0xb574, v38
	v_fmamk_f16 v37, v15, 0xb574, v39
	v_fma_f16 v7, v7, 0xbb00, -v39
	v_fma_f16 v15, v15, 0x3574, -v41
	v_fmamk_f16 v14, v14, 0xbcab, v42
	v_fmamk_f16 v24, v24, 0xbcab, v4
	v_fma_f16 v32, v32, 0xbb00, -v38
	v_fma_f16 v34, v34, 0x3574, -v40
	v_fmac_f16_e32 v36, 0xb70e, v29
	v_fmac_f16_e32 v37, 0xb70e, v5
	;; [unrolled: 1-line block ×4, first 2 shown]
	v_add_f16_e32 v5, v6, v14
	v_add_f16_e32 v6, v30, v24
	v_fmac_f16_e32 v32, 0xb70e, v29
	v_fmac_f16_e32 v34, 0xb70e, v29
	v_add_f16_e32 v29, v33, v14
	v_add_f16_e32 v14, v27, v14
	;; [unrolled: 1-line block ×5, first 2 shown]
	v_sub_f16_e32 v30, v6, v36
	v_add_f16_e32 v33, v15, v14
	v_sub_f16_e32 v35, v27, v34
	v_sub_f16_e32 v38, v29, v7
	v_add_f16_e32 v39, v32, v24
	v_add_f16_e32 v7, v7, v29
	v_sub_f16_e32 v24, v24, v32
	v_sub_f16_e32 v14, v14, v15
	v_add_f16_e32 v15, v34, v27
	v_sub_f16_e32 v5, v5, v37
	v_add_f16_e32 v6, v36, v6
	v_pack_b32_f16 v4, v42, v4
	v_pack_b32_f16 v27, v28, v30
	;; [unrolled: 1-line block ×7, first 2 shown]
	ds_write2_b32 v25, v4, v27 offset1:242
	ds_write2_b32 v31, v28, v29 offset0:4 offset1:246
	ds_write2_b32 v20, v7, v14 offset0:8 offset1:250
	ds_write_b32 v25, v5 offset:5808
	s_and_saveexec_b32 s1, s0
	s_cbranch_execz .LBB0_27
; %bb.26:
	v_add_nc_u32_e32 v4, 0xffffffa8, v8
	v_mov_b32_e32 v5, 0
	v_add_nc_u32_e32 v20, 0x9e0, v25
	v_add_nc_u32_e32 v24, 0x1180, v25
	v_cndmask_b32_e64 v4, v4, v9, s0
	v_add_nc_u32_e32 v9, 0x240, v25
	v_mul_i32_i24_e32 v4, 6, v4
	v_lshlrev_b64 v[4:5], 2, v[4:5]
	v_add_co_u32 v14, s0, s8, v4
	v_add_co_ci_u32_e64 v15, s0, s9, v5, s0
	s_clause 0x1
	global_load_dwordx4 v[4:7], v[14:15], off offset:924
	global_load_dwordx2 v[14:15], v[14:15], off offset:940
	s_waitcnt vmcnt(1)
	v_mul_f16_sdwa v27, v19, v4 dst_sel:DWORD dst_unused:UNUSED_PAD src0_sel:DWORD src1_sel:WORD_1
	s_waitcnt vmcnt(0)
	v_mul_f16_sdwa v28, v21, v15 dst_sel:DWORD dst_unused:UNUSED_PAD src0_sel:DWORD src1_sel:WORD_1
	v_mul_f16_sdwa v30, v18, v6 dst_sel:DWORD dst_unused:UNUSED_PAD src0_sel:DWORD src1_sel:WORD_1
	;; [unrolled: 1-line block ×11, first 2 shown]
	v_fmac_f16_e32 v27, v1, v4
	v_fmac_f16_e32 v28, v22, v15
	;; [unrolled: 1-line block ×5, first 2 shown]
	v_fma_f16 v1, v21, v15, -v33
	v_fma_f16 v2, v19, v4, -v34
	;; [unrolled: 1-line block ×5, first 2 shown]
	v_fmac_f16_e32 v29, v12, v7
	v_fma_f16 v4, v26, v7, -v36
	v_add_f16_e32 v14, v2, v1
	v_add_f16_e32 v18, v27, v28
	v_add_f16_e32 v17, v5, v6
	v_add_f16_e32 v21, v31, v32
	v_sub_f16_e32 v7, v27, v28
	v_sub_f16_e32 v12, v29, v30
	;; [unrolled: 1-line block ×3, first 2 shown]
	v_add_f16_e32 v15, v3, v4
	v_add_f16_e32 v19, v30, v29
	v_sub_f16_e32 v1, v2, v1
	v_sub_f16_e32 v2, v4, v3
	;; [unrolled: 1-line block ×3, first 2 shown]
	v_add_f16_e32 v23, v17, v14
	v_add_f16_e32 v28, v21, v18
	v_sub_f16_e32 v4, v7, v12
	v_sub_f16_e32 v5, v12, v13
	v_add_f16_e32 v6, v12, v13
	v_sub_f16_e32 v12, v14, v15
	v_sub_f16_e32 v22, v15, v17
	;; [unrolled: 1-line block ×6, first 2 shown]
	v_add_f16_e32 v2, v2, v3
	v_sub_f16_e32 v13, v13, v7
	v_sub_f16_e32 v3, v3, v1
	v_add_f16_e32 v15, v15, v23
	v_add_f16_e32 v19, v19, v28
	v_sub_f16_e32 v14, v17, v14
	v_sub_f16_e32 v17, v21, v18
	v_mul_f16_e32 v5, 0x3846, v5
	v_add_f16_e32 v6, v6, v7
	v_mul_f16_e32 v7, 0x3a52, v12
	v_mul_f16_e32 v12, 0x2b26, v22
	;; [unrolled: 1-line block ×4, first 2 shown]
	v_add_f16_e32 v1, v2, v1
	v_mul_f16_e32 v2, 0xbb00, v13
	v_mul_f16_e32 v26, 0xbb00, v3
	v_add_f16_e32 v16, v16, v15
	v_add_f16_e32 v0, v0, v19
	v_mul_f16_e32 v21, 0x2b26, v27
	v_fmamk_f16 v28, v4, 0xb574, v5
	v_fmamk_f16 v22, v22, 0x2b26, v7
	;; [unrolled: 1-line block ×4, first 2 shown]
	v_fma_f16 v2, v4, 0x3574, -v2
	v_fma_f16 v4, v14, 0xb9e0, -v7
	;; [unrolled: 1-line block ×7, first 2 shown]
	v_fmamk_f16 v14, v15, 0xbcab, v16
	v_fmamk_f16 v15, v19, 0xbcab, v0
	v_fma_f16 v13, v17, 0x39e0, -v21
	v_fmac_f16_e32 v28, 0xb70e, v6
	v_fmac_f16_e32 v30, 0xb70e, v1
	;; [unrolled: 1-line block ×6, first 2 shown]
	v_add_f16_e32 v1, v22, v14
	v_add_f16_e32 v6, v27, v15
	;; [unrolled: 1-line block ×6, first 2 shown]
	v_pack_b32_f16 v0, v0, v16
	v_add_f16_e32 v14, v28, v1
	v_add_f16_e32 v16, v2, v4
	v_sub_f16_e32 v2, v4, v2
	v_sub_f16_e32 v1, v1, v28
	v_add_f16_e32 v4, v30, v6
	v_sub_f16_e32 v15, v6, v30
	v_sub_f16_e32 v17, v12, v5
	v_add_f16_e32 v5, v5, v12
	v_add_f16_e32 v6, v18, v7
	v_sub_f16_e32 v12, v13, v3
	v_add_f16_e32 v3, v3, v13
	v_sub_f16_e32 v7, v7, v18
	v_pack_b32_f16 v1, v4, v1
	v_pack_b32_f16 v2, v6, v2
	v_pack_b32_f16 v4, v12, v5
	v_pack_b32_f16 v3, v3, v17
	v_pack_b32_f16 v5, v7, v16
	v_pack_b32_f16 v6, v15, v14
	ds_write2_b32 v9, v0, v1 offset0:10 offset1:252
	ds_write2_b32 v20, v2, v4 offset0:6 offset1:248
	;; [unrolled: 1-line block ×3, first 2 shown]
	ds_write_b32 v25, v6 offset:6424
.LBB0_27:
	s_or_b32 exec_lo, exec_lo, s1
	s_waitcnt lgkmcnt(0)
	s_barrier
	buffer_gl0_inv
	s_and_saveexec_b32 s0, vcc_lo
	s_cbranch_execz .LBB0_29
; %bb.28:
	v_lshl_add_u32 v14, v8, 2, 0
	v_mov_b32_e32 v9, 0
	v_add_co_u32 v15, vcc_lo, s2, v10
	v_add_nc_u32_e32 v0, 0x9a, v8
	ds_read2_b32 v[4:5], v14 offset1:154
	v_add_nc_u32_e32 v12, 0x400, v14
	v_mov_b32_e32 v1, v9
	v_add_co_ci_u32_e32 v16, vcc_lo, s3, v11, vcc_lo
	v_lshlrev_b64 v[6:7], 2, v[8:9]
	ds_read2_b32 v[10:11], v12 offset0:52 offset1:206
	v_add_nc_u32_e32 v2, 0x134, v8
	v_mov_b32_e32 v3, v9
	v_lshlrev_b64 v[0:1], 2, v[0:1]
	v_add_nc_u32_e32 v12, 0x268, v8
	v_add_co_u32 v6, vcc_lo, v15, v6
	v_lshlrev_b64 v[2:3], 2, v[2:3]
	v_add_co_ci_u32_e32 v7, vcc_lo, v16, v7, vcc_lo
	v_add_co_u32 v0, vcc_lo, v15, v0
	v_add_co_ci_u32_e32 v1, vcc_lo, v16, v1, vcc_lo
	v_add_co_u32 v2, vcc_lo, v15, v2
	s_waitcnt lgkmcnt(1)
	global_store_dword v[6:7], v4, off
	v_add_co_ci_u32_e32 v3, vcc_lo, v16, v3, vcc_lo
	v_add_nc_u32_e32 v4, 0x900, v14
	v_add_nc_u32_e32 v6, 0x1ce, v8
	v_mov_b32_e32 v7, v9
	global_store_dword v[0:1], v5, off
	s_waitcnt lgkmcnt(0)
	global_store_dword v[2:3], v10, off
	v_mov_b32_e32 v13, v9
	ds_read2_b32 v[2:3], v4 offset0:40 offset1:194
	v_add_nc_u32_e32 v10, 0xe00, v14
	v_lshlrev_b64 v[0:1], 2, v[6:7]
	v_add_nc_u32_e32 v6, 0x302, v8
	v_lshlrev_b64 v[4:5], 2, v[12:13]
	v_add_nc_u32_e32 v12, 0x39c, v8
	v_add_co_u32 v0, vcc_lo, v15, v0
	v_lshlrev_b64 v[6:7], 2, v[6:7]
	v_add_co_ci_u32_e32 v1, vcc_lo, v16, v1, vcc_lo
	v_add_co_u32 v4, vcc_lo, v15, v4
	v_add_co_ci_u32_e32 v5, vcc_lo, v16, v5, vcc_lo
	v_add_co_u32 v6, vcc_lo, v15, v6
	v_add_co_ci_u32_e32 v7, vcc_lo, v16, v7, vcc_lo
	global_store_dword v[0:1], v11, off
	s_waitcnt lgkmcnt(0)
	global_store_dword v[4:5], v2, off
	global_store_dword v[6:7], v3, off
	ds_read2_b32 v[0:1], v10 offset0:28 offset1:182
	v_add_nc_u32_e32 v4, 0x436, v8
	v_mov_b32_e32 v5, v9
	v_add_nc_u32_e32 v10, 0x1200, v14
	v_lshlrev_b64 v[2:3], 2, v[12:13]
	v_add_nc_u32_e32 v6, 0x4d0, v8
	v_mov_b32_e32 v7, v9
	v_lshlrev_b64 v[4:5], 2, v[4:5]
	ds_read2_b32 v[10:11], v10 offset0:80 offset1:234
	v_add_nc_u32_e32 v12, 0x56a, v8
	ds_read_b32 v14, v14 offset:6160
	v_add_co_u32 v2, vcc_lo, v15, v2
	v_lshlrev_b64 v[6:7], 2, v[6:7]
	v_add_nc_u32_e32 v8, 0x604, v8
	v_add_co_ci_u32_e32 v3, vcc_lo, v16, v3, vcc_lo
	v_add_co_u32 v4, vcc_lo, v15, v4
	v_lshlrev_b64 v[12:13], 2, v[12:13]
	v_add_co_ci_u32_e32 v5, vcc_lo, v16, v5, vcc_lo
	v_add_co_u32 v6, vcc_lo, v15, v6
	v_lshlrev_b64 v[8:9], 2, v[8:9]
	v_add_co_ci_u32_e32 v7, vcc_lo, v16, v7, vcc_lo
	v_add_co_u32 v12, vcc_lo, v15, v12
	v_add_co_ci_u32_e32 v13, vcc_lo, v16, v13, vcc_lo
	v_add_co_u32 v8, vcc_lo, v15, v8
	v_add_co_ci_u32_e32 v9, vcc_lo, v16, v9, vcc_lo
	s_waitcnt lgkmcnt(2)
	global_store_dword v[2:3], v0, off
	global_store_dword v[4:5], v1, off
	s_waitcnt lgkmcnt(1)
	global_store_dword v[6:7], v10, off
	global_store_dword v[12:13], v11, off
	s_waitcnt lgkmcnt(0)
	global_store_dword v[8:9], v14, off
.LBB0_29:
	s_endpgm
	.section	.rodata,"a",@progbits
	.p2align	6, 0x0
	.amdhsa_kernel fft_rtc_back_len1694_factors_11_2_11_7_wgs_154_tpt_154_halfLds_half_ip_CI_unitstride_sbrr_C2R_dirReg
		.amdhsa_group_segment_fixed_size 0
		.amdhsa_private_segment_fixed_size 0
		.amdhsa_kernarg_size 88
		.amdhsa_user_sgpr_count 6
		.amdhsa_user_sgpr_private_segment_buffer 1
		.amdhsa_user_sgpr_dispatch_ptr 0
		.amdhsa_user_sgpr_queue_ptr 0
		.amdhsa_user_sgpr_kernarg_segment_ptr 1
		.amdhsa_user_sgpr_dispatch_id 0
		.amdhsa_user_sgpr_flat_scratch_init 0
		.amdhsa_user_sgpr_private_segment_size 0
		.amdhsa_wavefront_size32 1
		.amdhsa_uses_dynamic_stack 0
		.amdhsa_system_sgpr_private_segment_wavefront_offset 0
		.amdhsa_system_sgpr_workgroup_id_x 1
		.amdhsa_system_sgpr_workgroup_id_y 0
		.amdhsa_system_sgpr_workgroup_id_z 0
		.amdhsa_system_sgpr_workgroup_info 0
		.amdhsa_system_vgpr_workitem_id 0
		.amdhsa_next_free_vgpr 128
		.amdhsa_next_free_sgpr 21
		.amdhsa_reserve_vcc 1
		.amdhsa_reserve_flat_scratch 0
		.amdhsa_float_round_mode_32 0
		.amdhsa_float_round_mode_16_64 0
		.amdhsa_float_denorm_mode_32 3
		.amdhsa_float_denorm_mode_16_64 3
		.amdhsa_dx10_clamp 1
		.amdhsa_ieee_mode 1
		.amdhsa_fp16_overflow 0
		.amdhsa_workgroup_processor_mode 1
		.amdhsa_memory_ordered 1
		.amdhsa_forward_progress 0
		.amdhsa_shared_vgpr_count 0
		.amdhsa_exception_fp_ieee_invalid_op 0
		.amdhsa_exception_fp_denorm_src 0
		.amdhsa_exception_fp_ieee_div_zero 0
		.amdhsa_exception_fp_ieee_overflow 0
		.amdhsa_exception_fp_ieee_underflow 0
		.amdhsa_exception_fp_ieee_inexact 0
		.amdhsa_exception_int_div_zero 0
	.end_amdhsa_kernel
	.text
.Lfunc_end0:
	.size	fft_rtc_back_len1694_factors_11_2_11_7_wgs_154_tpt_154_halfLds_half_ip_CI_unitstride_sbrr_C2R_dirReg, .Lfunc_end0-fft_rtc_back_len1694_factors_11_2_11_7_wgs_154_tpt_154_halfLds_half_ip_CI_unitstride_sbrr_C2R_dirReg
                                        ; -- End function
	.section	.AMDGPU.csdata,"",@progbits
; Kernel info:
; codeLenInByte = 10960
; NumSgprs: 23
; NumVgprs: 128
; ScratchSize: 0
; MemoryBound: 0
; FloatMode: 240
; IeeeMode: 1
; LDSByteSize: 0 bytes/workgroup (compile time only)
; SGPRBlocks: 2
; VGPRBlocks: 15
; NumSGPRsForWavesPerEU: 23
; NumVGPRsForWavesPerEU: 128
; Occupancy: 8
; WaveLimiterHint : 1
; COMPUTE_PGM_RSRC2:SCRATCH_EN: 0
; COMPUTE_PGM_RSRC2:USER_SGPR: 6
; COMPUTE_PGM_RSRC2:TRAP_HANDLER: 0
; COMPUTE_PGM_RSRC2:TGID_X_EN: 1
; COMPUTE_PGM_RSRC2:TGID_Y_EN: 0
; COMPUTE_PGM_RSRC2:TGID_Z_EN: 0
; COMPUTE_PGM_RSRC2:TIDIG_COMP_CNT: 0
	.text
	.p2alignl 6, 3214868480
	.fill 48, 4, 3214868480
	.type	__hip_cuid_5bf663e0e92d6a56,@object ; @__hip_cuid_5bf663e0e92d6a56
	.section	.bss,"aw",@nobits
	.globl	__hip_cuid_5bf663e0e92d6a56
__hip_cuid_5bf663e0e92d6a56:
	.byte	0                               ; 0x0
	.size	__hip_cuid_5bf663e0e92d6a56, 1

	.ident	"AMD clang version 19.0.0git (https://github.com/RadeonOpenCompute/llvm-project roc-6.4.0 25133 c7fe45cf4b819c5991fe208aaa96edf142730f1d)"
	.section	".note.GNU-stack","",@progbits
	.addrsig
	.addrsig_sym __hip_cuid_5bf663e0e92d6a56
	.amdgpu_metadata
---
amdhsa.kernels:
  - .args:
      - .actual_access:  read_only
        .address_space:  global
        .offset:         0
        .size:           8
        .value_kind:     global_buffer
      - .offset:         8
        .size:           8
        .value_kind:     by_value
      - .actual_access:  read_only
        .address_space:  global
        .offset:         16
        .size:           8
        .value_kind:     global_buffer
      - .actual_access:  read_only
        .address_space:  global
        .offset:         24
        .size:           8
        .value_kind:     global_buffer
      - .offset:         32
        .size:           8
        .value_kind:     by_value
      - .actual_access:  read_only
        .address_space:  global
        .offset:         40
        .size:           8
        .value_kind:     global_buffer
      - .actual_access:  read_only
        .address_space:  global
        .offset:         48
        .size:           8
        .value_kind:     global_buffer
      - .offset:         56
        .size:           4
        .value_kind:     by_value
      - .actual_access:  read_only
        .address_space:  global
        .offset:         64
        .size:           8
        .value_kind:     global_buffer
      - .actual_access:  read_only
        .address_space:  global
        .offset:         72
        .size:           8
        .value_kind:     global_buffer
      - .address_space:  global
        .offset:         80
        .size:           8
        .value_kind:     global_buffer
    .group_segment_fixed_size: 0
    .kernarg_segment_align: 8
    .kernarg_segment_size: 88
    .language:       OpenCL C
    .language_version:
      - 2
      - 0
    .max_flat_workgroup_size: 154
    .name:           fft_rtc_back_len1694_factors_11_2_11_7_wgs_154_tpt_154_halfLds_half_ip_CI_unitstride_sbrr_C2R_dirReg
    .private_segment_fixed_size: 0
    .sgpr_count:     23
    .sgpr_spill_count: 0
    .symbol:         fft_rtc_back_len1694_factors_11_2_11_7_wgs_154_tpt_154_halfLds_half_ip_CI_unitstride_sbrr_C2R_dirReg.kd
    .uniform_work_group_size: 1
    .uses_dynamic_stack: false
    .vgpr_count:     128
    .vgpr_spill_count: 0
    .wavefront_size: 32
    .workgroup_processor_mode: 1
amdhsa.target:   amdgcn-amd-amdhsa--gfx1030
amdhsa.version:
  - 1
  - 2
...

	.end_amdgpu_metadata
